;; amdgpu-corpus repo=LLNL/RAJAPerf kind=compiled arch=gfx1250 opt=O3
	.amdgcn_target "amdgcn-amd-amdhsa--gfx1250"
	.amdhsa_code_object_version 6
	.section	.text._ZN8rajaperf5basic9pi_atomicILm256EEEvPddl,"axG",@progbits,_ZN8rajaperf5basic9pi_atomicILm256EEEvPddl,comdat
	.protected	_ZN8rajaperf5basic9pi_atomicILm256EEEvPddl ; -- Begin function _ZN8rajaperf5basic9pi_atomicILm256EEEvPddl
	.globl	_ZN8rajaperf5basic9pi_atomicILm256EEEvPddl
	.p2align	8
	.type	_ZN8rajaperf5basic9pi_atomicILm256EEEvPddl,@function
_ZN8rajaperf5basic9pi_atomicILm256EEEvPddl: ; @_ZN8rajaperf5basic9pi_atomicILm256EEEvPddl
; %bb.0:
	s_load_b64 s[2:3], s[0:1], 0x10
	s_bfe_u32 s4, ttmp6, 0x4000c
	s_and_b32 s5, ttmp6, 15
	s_add_co_i32 s4, s4, 1
	s_getreg_b32 s6, hwreg(HW_REG_IB_STS2, 6, 4)
	s_mul_i32 s4, ttmp9, s4
	s_delay_alu instid0(SALU_CYCLE_1) | instskip(SKIP_3) | instid1(SALU_CYCLE_1)
	s_add_co_i32 s4, s5, s4
	s_cmp_eq_u32 s6, 0
	s_mov_b32 s5, 0
	s_cselect_b32 s4, ttmp9, s4
	s_lshl_b64 s[4:5], s[4:5], 8
	s_delay_alu instid0(SALU_CYCLE_1) | instskip(SKIP_1) | instid1(VALU_DEP_1)
	v_dual_mov_b32 v1, s5 :: v_dual_bitop2_b32 v0, s4, v0 bitop3:0x54
	s_wait_kmcnt 0x0
	v_cmp_gt_i64_e32 vcc_lo, s[2:3], v[0:1]
	s_and_saveexec_b32 s2, vcc_lo
	s_cbranch_execz .LBB0_5
; %bb.1:
	v_cvt_f64_u32_e32 v[2:3], v1
	v_cvt_f64_u32_e32 v[0:1], v0
	s_load_b128 s[0:3], s[0:1], 0x0
	s_mov_b32 s4, exec_lo
	s_delay_alu instid0(VALU_DEP_2) | instskip(NEXT) | instid1(VALU_DEP_1)
	v_ldexp_f64 v[2:3], v[2:3], 32
	v_add_f64_e32 v[0:1], v[2:3], v[0:1]
	s_delay_alu instid0(VALU_DEP_1) | instskip(SKIP_1) | instid1(VALU_DEP_1)
	v_add_f64_e32 v[0:1], 0.5, v[0:1]
	s_wait_kmcnt 0x0
	v_mul_f64_e32 v[0:1], s[2:3], v[0:1]
	s_delay_alu instid0(VALU_DEP_1) | instskip(NEXT) | instid1(VALU_DEP_1)
	v_fma_f64 v[0:1], v[0:1], v[0:1], 1.0
	v_div_scale_f64 v[2:3], null, v[0:1], v[0:1], s[2:3]
	s_delay_alu instid0(VALU_DEP_1) | instskip(SKIP_1) | instid1(TRANS32_DEP_1)
	v_rcp_f64_e32 v[4:5], v[2:3]
	v_nop
	v_fma_f64 v[6:7], -v[2:3], v[4:5], 1.0
	s_delay_alu instid0(VALU_DEP_1) | instskip(NEXT) | instid1(VALU_DEP_1)
	v_fmac_f64_e32 v[4:5], v[4:5], v[6:7]
	v_fma_f64 v[6:7], -v[2:3], v[4:5], 1.0
	s_delay_alu instid0(VALU_DEP_1) | instskip(SKIP_1) | instid1(VALU_DEP_1)
	v_fmac_f64_e32 v[4:5], v[4:5], v[6:7]
	v_div_scale_f64 v[6:7], vcc_lo, s[2:3], v[0:1], s[2:3]
	v_mul_f64_e32 v[8:9], v[6:7], v[4:5]
	s_delay_alu instid0(VALU_DEP_1) | instskip(NEXT) | instid1(VALU_DEP_1)
	v_fma_f64 v[2:3], -v[2:3], v[8:9], v[6:7]
	v_div_fmas_f64 v[2:3], v[2:3], v[4:5], v[8:9]
	s_delay_alu instid0(VALU_DEP_1)
	v_div_fixup_f64 v[2:3], v[2:3], v[0:1], s[2:3]
	v_mov_b64_e32 v[0:1], 0x8000000000000000
.LBB0_2:                                ; =>This Inner Loop Header: Depth=1
	s_ctz_i32_b32 s5, s4
	s_delay_alu instid0(VALU_DEP_2) | instid1(SALU_CYCLE_1)
	v_readlane_b32 s3, v3, s5
	s_delay_alu instid0(VALU_DEP_3) | instskip(NEXT) | instid1(VALU_DEP_1)
	v_readlane_b32 s2, v2, s5
	v_add_f64_e32 v[0:1], s[2:3], v[0:1]
	s_lshl_b32 s2, 1, s5
	s_delay_alu instid0(SALU_CYCLE_1) | instskip(NEXT) | instid1(SALU_CYCLE_1)
	s_and_not1_b32 s4, s4, s2
	s_cmp_lg_u32 s4, 0
	s_cbranch_scc1 .LBB0_2
; %bb.3:
	v_mbcnt_lo_u32_b32 v2, exec_lo, 0
	s_mov_b32 s2, exec_lo
	s_delay_alu instid0(VALU_DEP_1)
	v_cmpx_eq_u32_e32 0, v2
	s_xor_b32 s2, exec_lo, s2
	s_cbranch_execz .LBB0_5
; %bb.4:
	v_mov_b32_e32 v2, 0
	global_atomic_add_f64 v2, v[0:1], s[0:1] scope:SCOPE_DEV
.LBB0_5:
	s_endpgm
	.section	.rodata,"a",@progbits
	.p2align	6, 0x0
	.amdhsa_kernel _ZN8rajaperf5basic9pi_atomicILm256EEEvPddl
		.amdhsa_group_segment_fixed_size 0
		.amdhsa_private_segment_fixed_size 0
		.amdhsa_kernarg_size 24
		.amdhsa_user_sgpr_count 2
		.amdhsa_user_sgpr_dispatch_ptr 0
		.amdhsa_user_sgpr_queue_ptr 0
		.amdhsa_user_sgpr_kernarg_segment_ptr 1
		.amdhsa_user_sgpr_dispatch_id 0
		.amdhsa_user_sgpr_kernarg_preload_length 0
		.amdhsa_user_sgpr_kernarg_preload_offset 0
		.amdhsa_user_sgpr_private_segment_size 0
		.amdhsa_wavefront_size32 1
		.amdhsa_uses_dynamic_stack 0
		.amdhsa_enable_private_segment 0
		.amdhsa_system_sgpr_workgroup_id_x 1
		.amdhsa_system_sgpr_workgroup_id_y 0
		.amdhsa_system_sgpr_workgroup_id_z 0
		.amdhsa_system_sgpr_workgroup_info 0
		.amdhsa_system_vgpr_workitem_id 0
		.amdhsa_next_free_vgpr 10
		.amdhsa_next_free_sgpr 7
		.amdhsa_named_barrier_count 0
		.amdhsa_reserve_vcc 1
		.amdhsa_float_round_mode_32 0
		.amdhsa_float_round_mode_16_64 0
		.amdhsa_float_denorm_mode_32 3
		.amdhsa_float_denorm_mode_16_64 3
		.amdhsa_fp16_overflow 0
		.amdhsa_memory_ordered 1
		.amdhsa_forward_progress 1
		.amdhsa_inst_pref_size 3
		.amdhsa_round_robin_scheduling 0
		.amdhsa_exception_fp_ieee_invalid_op 0
		.amdhsa_exception_fp_denorm_src 0
		.amdhsa_exception_fp_ieee_div_zero 0
		.amdhsa_exception_fp_ieee_overflow 0
		.amdhsa_exception_fp_ieee_underflow 0
		.amdhsa_exception_fp_ieee_inexact 0
		.amdhsa_exception_int_div_zero 0
	.end_amdhsa_kernel
	.section	.text._ZN8rajaperf5basic9pi_atomicILm256EEEvPddl,"axG",@progbits,_ZN8rajaperf5basic9pi_atomicILm256EEEvPddl,comdat
.Lfunc_end0:
	.size	_ZN8rajaperf5basic9pi_atomicILm256EEEvPddl, .Lfunc_end0-_ZN8rajaperf5basic9pi_atomicILm256EEEvPddl
                                        ; -- End function
	.set _ZN8rajaperf5basic9pi_atomicILm256EEEvPddl.num_vgpr, 10
	.set _ZN8rajaperf5basic9pi_atomicILm256EEEvPddl.num_agpr, 0
	.set _ZN8rajaperf5basic9pi_atomicILm256EEEvPddl.numbered_sgpr, 7
	.set _ZN8rajaperf5basic9pi_atomicILm256EEEvPddl.num_named_barrier, 0
	.set _ZN8rajaperf5basic9pi_atomicILm256EEEvPddl.private_seg_size, 0
	.set _ZN8rajaperf5basic9pi_atomicILm256EEEvPddl.uses_vcc, 1
	.set _ZN8rajaperf5basic9pi_atomicILm256EEEvPddl.uses_flat_scratch, 0
	.set _ZN8rajaperf5basic9pi_atomicILm256EEEvPddl.has_dyn_sized_stack, 0
	.set _ZN8rajaperf5basic9pi_atomicILm256EEEvPddl.has_recursion, 0
	.set _ZN8rajaperf5basic9pi_atomicILm256EEEvPddl.has_indirect_call, 0
	.section	.AMDGPU.csdata,"",@progbits
; Kernel info:
; codeLenInByte = 360
; TotalNumSgprs: 9
; NumVgprs: 10
; ScratchSize: 0
; MemoryBound: 0
; FloatMode: 240
; IeeeMode: 1
; LDSByteSize: 0 bytes/workgroup (compile time only)
; SGPRBlocks: 0
; VGPRBlocks: 0
; NumSGPRsForWavesPerEU: 9
; NumVGPRsForWavesPerEU: 10
; NamedBarCnt: 0
; Occupancy: 16
; WaveLimiterHint : 0
; COMPUTE_PGM_RSRC2:SCRATCH_EN: 0
; COMPUTE_PGM_RSRC2:USER_SGPR: 2
; COMPUTE_PGM_RSRC2:TRAP_HANDLER: 0
; COMPUTE_PGM_RSRC2:TGID_X_EN: 1
; COMPUTE_PGM_RSRC2:TGID_Y_EN: 0
; COMPUTE_PGM_RSRC2:TGID_Z_EN: 0
; COMPUTE_PGM_RSRC2:TIDIG_COMP_CNT: 0
	.section	.text._ZN8rajaperf17lambda_hip_forallILm256EZNS_5basic9PI_ATOMIC17runHipVariantImplILm256EEEvNS_9VariantIDEEUllE_EEvllT0_,"axG",@progbits,_ZN8rajaperf17lambda_hip_forallILm256EZNS_5basic9PI_ATOMIC17runHipVariantImplILm256EEEvNS_9VariantIDEEUllE_EEvllT0_,comdat
	.protected	_ZN8rajaperf17lambda_hip_forallILm256EZNS_5basic9PI_ATOMIC17runHipVariantImplILm256EEEvNS_9VariantIDEEUllE_EEvllT0_ ; -- Begin function _ZN8rajaperf17lambda_hip_forallILm256EZNS_5basic9PI_ATOMIC17runHipVariantImplILm256EEEvNS_9VariantIDEEUllE_EEvllT0_
	.globl	_ZN8rajaperf17lambda_hip_forallILm256EZNS_5basic9PI_ATOMIC17runHipVariantImplILm256EEEvNS_9VariantIDEEUllE_EEvllT0_
	.p2align	8
	.type	_ZN8rajaperf17lambda_hip_forallILm256EZNS_5basic9PI_ATOMIC17runHipVariantImplILm256EEEvNS_9VariantIDEEUllE_EEvllT0_,@function
_ZN8rajaperf17lambda_hip_forallILm256EZNS_5basic9PI_ATOMIC17runHipVariantImplILm256EEEvNS_9VariantIDEEUllE_EEvllT0_: ; @_ZN8rajaperf17lambda_hip_forallILm256EZNS_5basic9PI_ATOMIC17runHipVariantImplILm256EEEvNS_9VariantIDEEUllE_EEvllT0_
; %bb.0:
	s_load_b128 s[4:7], s[0:1], 0x0
	s_bfe_u32 s2, ttmp6, 0x4000c
	s_and_b32 s3, ttmp6, 15
	s_add_co_i32 s2, s2, 1
	s_getreg_b32 s8, hwreg(HW_REG_IB_STS2, 6, 4)
	s_mul_i32 s2, ttmp9, s2
	v_mov_b32_e32 v1, 0
	s_add_co_i32 s2, s3, s2
	s_cmp_eq_u32 s8, 0
	s_mov_b32 s3, 0
	s_cselect_b32 s2, ttmp9, s2
	s_delay_alu instid0(SALU_CYCLE_1) | instskip(SKIP_2) | instid1(SALU_CYCLE_1)
	s_lshl_b64 s[2:3], s[2:3], 8
	s_wait_kmcnt 0x0
	s_add_nc_u64 s[2:3], s[4:5], s[2:3]
	v_add_nc_u64_e32 v[0:1], s[2:3], v[0:1]
	s_mov_b32 s2, exec_lo
	s_delay_alu instid0(VALU_DEP_1)
	v_cmpx_gt_i64_e64 s[6:7], v[0:1]
	s_cbranch_execz .LBB1_5
; %bb.1:
	v_cvt_f64_i32_e32 v[2:3], v1
	v_cvt_f64_u32_e32 v[0:1], v0
	s_load_b128 s[4:7], s[0:1], 0x10
	s_mov_b32 s2, exec_lo
	s_delay_alu instid0(VALU_DEP_2) | instskip(NEXT) | instid1(VALU_DEP_1)
	v_ldexp_f64 v[2:3], v[2:3], 32
	v_add_f64_e32 v[0:1], v[2:3], v[0:1]
	s_delay_alu instid0(VALU_DEP_1) | instskip(SKIP_1) | instid1(VALU_DEP_1)
	v_add_f64_e32 v[0:1], 0.5, v[0:1]
	s_wait_kmcnt 0x0
	v_mul_f64_e32 v[0:1], s[4:5], v[0:1]
	s_delay_alu instid0(VALU_DEP_1) | instskip(NEXT) | instid1(VALU_DEP_1)
	v_fma_f64 v[0:1], v[0:1], v[0:1], 1.0
	v_div_scale_f64 v[2:3], null, v[0:1], v[0:1], s[4:5]
	s_delay_alu instid0(VALU_DEP_1) | instskip(SKIP_1) | instid1(TRANS32_DEP_1)
	v_rcp_f64_e32 v[4:5], v[2:3]
	v_nop
	v_fma_f64 v[6:7], -v[2:3], v[4:5], 1.0
	s_delay_alu instid0(VALU_DEP_1) | instskip(NEXT) | instid1(VALU_DEP_1)
	v_fmac_f64_e32 v[4:5], v[4:5], v[6:7]
	v_fma_f64 v[6:7], -v[2:3], v[4:5], 1.0
	s_delay_alu instid0(VALU_DEP_1) | instskip(SKIP_1) | instid1(VALU_DEP_1)
	v_fmac_f64_e32 v[4:5], v[4:5], v[6:7]
	v_div_scale_f64 v[6:7], vcc_lo, s[4:5], v[0:1], s[4:5]
	v_mul_f64_e32 v[8:9], v[6:7], v[4:5]
	s_delay_alu instid0(VALU_DEP_1) | instskip(NEXT) | instid1(VALU_DEP_1)
	v_fma_f64 v[2:3], -v[2:3], v[8:9], v[6:7]
	v_div_fmas_f64 v[2:3], v[2:3], v[4:5], v[8:9]
	s_delay_alu instid0(VALU_DEP_1)
	v_div_fixup_f64 v[2:3], v[2:3], v[0:1], s[4:5]
	v_mov_b64_e32 v[0:1], 0x8000000000000000
.LBB1_2:                                ; =>This Inner Loop Header: Depth=1
	s_ctz_i32_b32 s3, s2
	s_delay_alu instid0(VALU_DEP_2) | instid1(SALU_CYCLE_1)
	v_readlane_b32 s1, v3, s3
	s_delay_alu instid0(VALU_DEP_3) | instskip(NEXT) | instid1(VALU_DEP_1)
	v_readlane_b32 s0, v2, s3
	v_add_f64_e32 v[0:1], s[0:1], v[0:1]
	s_lshl_b32 s0, 1, s3
	s_delay_alu instid0(SALU_CYCLE_1) | instskip(NEXT) | instid1(SALU_CYCLE_1)
	s_and_not1_b32 s2, s2, s0
	s_cmp_lg_u32 s2, 0
	s_cbranch_scc1 .LBB1_2
; %bb.3:
	v_mbcnt_lo_u32_b32 v2, exec_lo, 0
	s_mov_b32 s0, exec_lo
	s_delay_alu instid0(VALU_DEP_1)
	v_cmpx_eq_u32_e32 0, v2
	s_xor_b32 s0, exec_lo, s0
	s_cbranch_execz .LBB1_5
; %bb.4:
	v_mov_b32_e32 v2, 0
	global_atomic_add_f64 v2, v[0:1], s[6:7] scope:SCOPE_DEV
.LBB1_5:
	s_endpgm
	.section	.rodata,"a",@progbits
	.p2align	6, 0x0
	.amdhsa_kernel _ZN8rajaperf17lambda_hip_forallILm256EZNS_5basic9PI_ATOMIC17runHipVariantImplILm256EEEvNS_9VariantIDEEUllE_EEvllT0_
		.amdhsa_group_segment_fixed_size 0
		.amdhsa_private_segment_fixed_size 0
		.amdhsa_kernarg_size 32
		.amdhsa_user_sgpr_count 2
		.amdhsa_user_sgpr_dispatch_ptr 0
		.amdhsa_user_sgpr_queue_ptr 0
		.amdhsa_user_sgpr_kernarg_segment_ptr 1
		.amdhsa_user_sgpr_dispatch_id 0
		.amdhsa_user_sgpr_kernarg_preload_length 0
		.amdhsa_user_sgpr_kernarg_preload_offset 0
		.amdhsa_user_sgpr_private_segment_size 0
		.amdhsa_wavefront_size32 1
		.amdhsa_uses_dynamic_stack 0
		.amdhsa_enable_private_segment 0
		.amdhsa_system_sgpr_workgroup_id_x 1
		.amdhsa_system_sgpr_workgroup_id_y 0
		.amdhsa_system_sgpr_workgroup_id_z 0
		.amdhsa_system_sgpr_workgroup_info 0
		.amdhsa_system_vgpr_workitem_id 0
		.amdhsa_next_free_vgpr 10
		.amdhsa_next_free_sgpr 9
		.amdhsa_named_barrier_count 0
		.amdhsa_reserve_vcc 1
		.amdhsa_float_round_mode_32 0
		.amdhsa_float_round_mode_16_64 0
		.amdhsa_float_denorm_mode_32 3
		.amdhsa_float_denorm_mode_16_64 3
		.amdhsa_fp16_overflow 0
		.amdhsa_memory_ordered 1
		.amdhsa_forward_progress 1
		.amdhsa_inst_pref_size 3
		.amdhsa_round_robin_scheduling 0
		.amdhsa_exception_fp_ieee_invalid_op 0
		.amdhsa_exception_fp_denorm_src 0
		.amdhsa_exception_fp_ieee_div_zero 0
		.amdhsa_exception_fp_ieee_overflow 0
		.amdhsa_exception_fp_ieee_underflow 0
		.amdhsa_exception_fp_ieee_inexact 0
		.amdhsa_exception_int_div_zero 0
	.end_amdhsa_kernel
	.section	.text._ZN8rajaperf17lambda_hip_forallILm256EZNS_5basic9PI_ATOMIC17runHipVariantImplILm256EEEvNS_9VariantIDEEUllE_EEvllT0_,"axG",@progbits,_ZN8rajaperf17lambda_hip_forallILm256EZNS_5basic9PI_ATOMIC17runHipVariantImplILm256EEEvNS_9VariantIDEEUllE_EEvllT0_,comdat
.Lfunc_end1:
	.size	_ZN8rajaperf17lambda_hip_forallILm256EZNS_5basic9PI_ATOMIC17runHipVariantImplILm256EEEvNS_9VariantIDEEUllE_EEvllT0_, .Lfunc_end1-_ZN8rajaperf17lambda_hip_forallILm256EZNS_5basic9PI_ATOMIC17runHipVariantImplILm256EEEvNS_9VariantIDEEUllE_EEvllT0_
                                        ; -- End function
	.set _ZN8rajaperf17lambda_hip_forallILm256EZNS_5basic9PI_ATOMIC17runHipVariantImplILm256EEEvNS_9VariantIDEEUllE_EEvllT0_.num_vgpr, 10
	.set _ZN8rajaperf17lambda_hip_forallILm256EZNS_5basic9PI_ATOMIC17runHipVariantImplILm256EEEvNS_9VariantIDEEUllE_EEvllT0_.num_agpr, 0
	.set _ZN8rajaperf17lambda_hip_forallILm256EZNS_5basic9PI_ATOMIC17runHipVariantImplILm256EEEvNS_9VariantIDEEUllE_EEvllT0_.numbered_sgpr, 9
	.set _ZN8rajaperf17lambda_hip_forallILm256EZNS_5basic9PI_ATOMIC17runHipVariantImplILm256EEEvNS_9VariantIDEEUllE_EEvllT0_.num_named_barrier, 0
	.set _ZN8rajaperf17lambda_hip_forallILm256EZNS_5basic9PI_ATOMIC17runHipVariantImplILm256EEEvNS_9VariantIDEEUllE_EEvllT0_.private_seg_size, 0
	.set _ZN8rajaperf17lambda_hip_forallILm256EZNS_5basic9PI_ATOMIC17runHipVariantImplILm256EEEvNS_9VariantIDEEUllE_EEvllT0_.uses_vcc, 1
	.set _ZN8rajaperf17lambda_hip_forallILm256EZNS_5basic9PI_ATOMIC17runHipVariantImplILm256EEEvNS_9VariantIDEEUllE_EEvllT0_.uses_flat_scratch, 0
	.set _ZN8rajaperf17lambda_hip_forallILm256EZNS_5basic9PI_ATOMIC17runHipVariantImplILm256EEEvNS_9VariantIDEEUllE_EEvllT0_.has_dyn_sized_stack, 0
	.set _ZN8rajaperf17lambda_hip_forallILm256EZNS_5basic9PI_ATOMIC17runHipVariantImplILm256EEEvNS_9VariantIDEEUllE_EEvllT0_.has_recursion, 0
	.set _ZN8rajaperf17lambda_hip_forallILm256EZNS_5basic9PI_ATOMIC17runHipVariantImplILm256EEEvNS_9VariantIDEEUllE_EEvllT0_.has_indirect_call, 0
	.section	.AMDGPU.csdata,"",@progbits
; Kernel info:
; codeLenInByte = 364
; TotalNumSgprs: 11
; NumVgprs: 10
; ScratchSize: 0
; MemoryBound: 0
; FloatMode: 240
; IeeeMode: 1
; LDSByteSize: 0 bytes/workgroup (compile time only)
; SGPRBlocks: 0
; VGPRBlocks: 0
; NumSGPRsForWavesPerEU: 11
; NumVGPRsForWavesPerEU: 10
; NamedBarCnt: 0
; Occupancy: 16
; WaveLimiterHint : 0
; COMPUTE_PGM_RSRC2:SCRATCH_EN: 0
; COMPUTE_PGM_RSRC2:USER_SGPR: 2
; COMPUTE_PGM_RSRC2:TRAP_HANDLER: 0
; COMPUTE_PGM_RSRC2:TGID_X_EN: 1
; COMPUTE_PGM_RSRC2:TGID_Y_EN: 0
; COMPUTE_PGM_RSRC2:TGID_Z_EN: 0
; COMPUTE_PGM_RSRC2:TIDIG_COMP_CNT: 0
	.section	.text._ZN4RAJA6policy3hip4impl18forallp_hip_kernelINS1_8hip_execINS_17iteration_mapping6DirectENS_3hip11IndexGlobalILNS_9named_dimE0ELi256ELi0EEENS7_40AvoidDeviceMaxThreadOccupancyConcretizerINS7_34FractionOffsetOccupancyConcretizerINS_8FractionImLm1ELm1EEELln1EEEEELb1EEENS_9Iterators16numeric_iteratorIllPlEEZN8rajaperf5basic9PI_ATOMIC17runHipVariantImplILm256EEEvNSM_9VariantIDEEUllE0_lNS_4expt15ForallParamPackIJEEES6_SA_TnNSt9enable_ifIXaasr3std10is_base_ofINS5_10DirectBaseET4_EE5valuegtsrT5_10block_sizeLi0EEmE4typeELm256EEEvT1_T0_T2_T3_,"axG",@progbits,_ZN4RAJA6policy3hip4impl18forallp_hip_kernelINS1_8hip_execINS_17iteration_mapping6DirectENS_3hip11IndexGlobalILNS_9named_dimE0ELi256ELi0EEENS7_40AvoidDeviceMaxThreadOccupancyConcretizerINS7_34FractionOffsetOccupancyConcretizerINS_8FractionImLm1ELm1EEELln1EEEEELb1EEENS_9Iterators16numeric_iteratorIllPlEEZN8rajaperf5basic9PI_ATOMIC17runHipVariantImplILm256EEEvNSM_9VariantIDEEUllE0_lNS_4expt15ForallParamPackIJEEES6_SA_TnNSt9enable_ifIXaasr3std10is_base_ofINS5_10DirectBaseET4_EE5valuegtsrT5_10block_sizeLi0EEmE4typeELm256EEEvT1_T0_T2_T3_,comdat
	.protected	_ZN4RAJA6policy3hip4impl18forallp_hip_kernelINS1_8hip_execINS_17iteration_mapping6DirectENS_3hip11IndexGlobalILNS_9named_dimE0ELi256ELi0EEENS7_40AvoidDeviceMaxThreadOccupancyConcretizerINS7_34FractionOffsetOccupancyConcretizerINS_8FractionImLm1ELm1EEELln1EEEEELb1EEENS_9Iterators16numeric_iteratorIllPlEEZN8rajaperf5basic9PI_ATOMIC17runHipVariantImplILm256EEEvNSM_9VariantIDEEUllE0_lNS_4expt15ForallParamPackIJEEES6_SA_TnNSt9enable_ifIXaasr3std10is_base_ofINS5_10DirectBaseET4_EE5valuegtsrT5_10block_sizeLi0EEmE4typeELm256EEEvT1_T0_T2_T3_ ; -- Begin function _ZN4RAJA6policy3hip4impl18forallp_hip_kernelINS1_8hip_execINS_17iteration_mapping6DirectENS_3hip11IndexGlobalILNS_9named_dimE0ELi256ELi0EEENS7_40AvoidDeviceMaxThreadOccupancyConcretizerINS7_34FractionOffsetOccupancyConcretizerINS_8FractionImLm1ELm1EEELln1EEEEELb1EEENS_9Iterators16numeric_iteratorIllPlEEZN8rajaperf5basic9PI_ATOMIC17runHipVariantImplILm256EEEvNSM_9VariantIDEEUllE0_lNS_4expt15ForallParamPackIJEEES6_SA_TnNSt9enable_ifIXaasr3std10is_base_ofINS5_10DirectBaseET4_EE5valuegtsrT5_10block_sizeLi0EEmE4typeELm256EEEvT1_T0_T2_T3_
	.globl	_ZN4RAJA6policy3hip4impl18forallp_hip_kernelINS1_8hip_execINS_17iteration_mapping6DirectENS_3hip11IndexGlobalILNS_9named_dimE0ELi256ELi0EEENS7_40AvoidDeviceMaxThreadOccupancyConcretizerINS7_34FractionOffsetOccupancyConcretizerINS_8FractionImLm1ELm1EEELln1EEEEELb1EEENS_9Iterators16numeric_iteratorIllPlEEZN8rajaperf5basic9PI_ATOMIC17runHipVariantImplILm256EEEvNSM_9VariantIDEEUllE0_lNS_4expt15ForallParamPackIJEEES6_SA_TnNSt9enable_ifIXaasr3std10is_base_ofINS5_10DirectBaseET4_EE5valuegtsrT5_10block_sizeLi0EEmE4typeELm256EEEvT1_T0_T2_T3_
	.p2align	8
	.type	_ZN4RAJA6policy3hip4impl18forallp_hip_kernelINS1_8hip_execINS_17iteration_mapping6DirectENS_3hip11IndexGlobalILNS_9named_dimE0ELi256ELi0EEENS7_40AvoidDeviceMaxThreadOccupancyConcretizerINS7_34FractionOffsetOccupancyConcretizerINS_8FractionImLm1ELm1EEELln1EEEEELb1EEENS_9Iterators16numeric_iteratorIllPlEEZN8rajaperf5basic9PI_ATOMIC17runHipVariantImplILm256EEEvNSM_9VariantIDEEUllE0_lNS_4expt15ForallParamPackIJEEES6_SA_TnNSt9enable_ifIXaasr3std10is_base_ofINS5_10DirectBaseET4_EE5valuegtsrT5_10block_sizeLi0EEmE4typeELm256EEEvT1_T0_T2_T3_,@function
_ZN4RAJA6policy3hip4impl18forallp_hip_kernelINS1_8hip_execINS_17iteration_mapping6DirectENS_3hip11IndexGlobalILNS_9named_dimE0ELi256ELi0EEENS7_40AvoidDeviceMaxThreadOccupancyConcretizerINS7_34FractionOffsetOccupancyConcretizerINS_8FractionImLm1ELm1EEELln1EEEEELb1EEENS_9Iterators16numeric_iteratorIllPlEEZN8rajaperf5basic9PI_ATOMIC17runHipVariantImplILm256EEEvNSM_9VariantIDEEUllE0_lNS_4expt15ForallParamPackIJEEES6_SA_TnNSt9enable_ifIXaasr3std10is_base_ofINS5_10DirectBaseET4_EE5valuegtsrT5_10block_sizeLi0EEmE4typeELm256EEEvT1_T0_T2_T3_: ; @_ZN4RAJA6policy3hip4impl18forallp_hip_kernelINS1_8hip_execINS_17iteration_mapping6DirectENS_3hip11IndexGlobalILNS_9named_dimE0ELi256ELi0EEENS7_40AvoidDeviceMaxThreadOccupancyConcretizerINS7_34FractionOffsetOccupancyConcretizerINS_8FractionImLm1ELm1EEELln1EEEEELb1EEENS_9Iterators16numeric_iteratorIllPlEEZN8rajaperf5basic9PI_ATOMIC17runHipVariantImplILm256EEEvNSM_9VariantIDEEUllE0_lNS_4expt15ForallParamPackIJEEES6_SA_TnNSt9enable_ifIXaasr3std10is_base_ofINS5_10DirectBaseET4_EE5valuegtsrT5_10block_sizeLi0EEmE4typeELm256EEEvT1_T0_T2_T3_
; %bb.0:
	s_load_b128 s[4:7], s[0:1], 0x10
	s_bfe_u32 s2, ttmp6, 0x4000c
	s_and_b32 s3, ttmp6, 15
	s_add_co_i32 s2, s2, 1
	s_getreg_b32 s8, hwreg(HW_REG_IB_STS2, 6, 4)
	s_mul_i32 s2, ttmp9, s2
	s_delay_alu instid0(SALU_CYCLE_1) | instskip(SKIP_3) | instid1(SALU_CYCLE_1)
	s_add_co_i32 s2, s3, s2
	s_cmp_eq_u32 s8, 0
	s_mov_b32 s3, 0
	s_cselect_b32 s2, ttmp9, s2
	s_lshl_b64 s[2:3], s[2:3], 8
	s_delay_alu instid0(SALU_CYCLE_1) | instskip(SKIP_2) | instid1(VALU_DEP_1)
	v_dual_mov_b32 v1, s3 :: v_dual_bitop2_b32 v0, s2, v0 bitop3:0x54
	s_mov_b32 s2, exec_lo
	s_wait_kmcnt 0x0
	v_cmpx_gt_i64_e64 s[6:7], v[0:1]
	s_cbranch_execz .LBB2_5
; %bb.1:
	v_add_nc_u64_e32 v[0:1], s[4:5], v[0:1]
	s_load_b128 s[4:7], s[0:1], 0x0
	s_mov_b32 s2, exec_lo
	s_delay_alu instid0(VALU_DEP_1) | instskip(NEXT) | instid1(VALU_DEP_2)
	v_cvt_f64_i32_e32 v[2:3], v1
	v_cvt_f64_u32_e32 v[0:1], v0
	s_delay_alu instid0(VALU_DEP_2) | instskip(NEXT) | instid1(VALU_DEP_1)
	v_ldexp_f64 v[2:3], v[2:3], 32
	v_add_f64_e32 v[0:1], v[2:3], v[0:1]
	s_delay_alu instid0(VALU_DEP_1) | instskip(SKIP_1) | instid1(VALU_DEP_1)
	v_add_f64_e32 v[0:1], 0.5, v[0:1]
	s_wait_kmcnt 0x0
	v_mul_f64_e32 v[0:1], s[4:5], v[0:1]
	s_delay_alu instid0(VALU_DEP_1) | instskip(NEXT) | instid1(VALU_DEP_1)
	v_fma_f64 v[0:1], v[0:1], v[0:1], 1.0
	v_div_scale_f64 v[2:3], null, v[0:1], v[0:1], s[4:5]
	s_delay_alu instid0(VALU_DEP_1) | instskip(SKIP_1) | instid1(TRANS32_DEP_1)
	v_rcp_f64_e32 v[4:5], v[2:3]
	v_nop
	v_fma_f64 v[6:7], -v[2:3], v[4:5], 1.0
	s_delay_alu instid0(VALU_DEP_1) | instskip(NEXT) | instid1(VALU_DEP_1)
	v_fmac_f64_e32 v[4:5], v[4:5], v[6:7]
	v_fma_f64 v[6:7], -v[2:3], v[4:5], 1.0
	s_delay_alu instid0(VALU_DEP_1) | instskip(SKIP_1) | instid1(VALU_DEP_1)
	v_fmac_f64_e32 v[4:5], v[4:5], v[6:7]
	v_div_scale_f64 v[6:7], vcc_lo, s[4:5], v[0:1], s[4:5]
	v_mul_f64_e32 v[8:9], v[6:7], v[4:5]
	s_delay_alu instid0(VALU_DEP_1) | instskip(NEXT) | instid1(VALU_DEP_1)
	v_fma_f64 v[2:3], -v[2:3], v[8:9], v[6:7]
	v_div_fmas_f64 v[2:3], v[2:3], v[4:5], v[8:9]
	s_delay_alu instid0(VALU_DEP_1)
	v_div_fixup_f64 v[2:3], v[2:3], v[0:1], s[4:5]
	v_mov_b64_e32 v[0:1], 0x8000000000000000
.LBB2_2:                                ; =>This Inner Loop Header: Depth=1
	s_ctz_i32_b32 s3, s2
	s_delay_alu instid0(VALU_DEP_2) | instid1(SALU_CYCLE_1)
	v_readlane_b32 s1, v3, s3
	s_delay_alu instid0(VALU_DEP_3) | instskip(NEXT) | instid1(VALU_DEP_1)
	v_readlane_b32 s0, v2, s3
	v_add_f64_e32 v[0:1], s[0:1], v[0:1]
	s_lshl_b32 s0, 1, s3
	s_delay_alu instid0(SALU_CYCLE_1) | instskip(NEXT) | instid1(SALU_CYCLE_1)
	s_and_not1_b32 s2, s2, s0
	s_cmp_lg_u32 s2, 0
	s_cbranch_scc1 .LBB2_2
; %bb.3:
	v_mbcnt_lo_u32_b32 v2, exec_lo, 0
	s_mov_b32 s0, exec_lo
	s_delay_alu instid0(VALU_DEP_1)
	v_cmpx_eq_u32_e32 0, v2
	s_xor_b32 s0, exec_lo, s0
	s_cbranch_execz .LBB2_5
; %bb.4:
	v_mov_b32_e32 v2, 0
	global_atomic_add_f64 v2, v[0:1], s[6:7] scope:SCOPE_DEV
.LBB2_5:
	s_endpgm
	.section	.rodata,"a",@progbits
	.p2align	6, 0x0
	.amdhsa_kernel _ZN4RAJA6policy3hip4impl18forallp_hip_kernelINS1_8hip_execINS_17iteration_mapping6DirectENS_3hip11IndexGlobalILNS_9named_dimE0ELi256ELi0EEENS7_40AvoidDeviceMaxThreadOccupancyConcretizerINS7_34FractionOffsetOccupancyConcretizerINS_8FractionImLm1ELm1EEELln1EEEEELb1EEENS_9Iterators16numeric_iteratorIllPlEEZN8rajaperf5basic9PI_ATOMIC17runHipVariantImplILm256EEEvNSM_9VariantIDEEUllE0_lNS_4expt15ForallParamPackIJEEES6_SA_TnNSt9enable_ifIXaasr3std10is_base_ofINS5_10DirectBaseET4_EE5valuegtsrT5_10block_sizeLi0EEmE4typeELm256EEEvT1_T0_T2_T3_
		.amdhsa_group_segment_fixed_size 0
		.amdhsa_private_segment_fixed_size 0
		.amdhsa_kernarg_size 36
		.amdhsa_user_sgpr_count 2
		.amdhsa_user_sgpr_dispatch_ptr 0
		.amdhsa_user_sgpr_queue_ptr 0
		.amdhsa_user_sgpr_kernarg_segment_ptr 1
		.amdhsa_user_sgpr_dispatch_id 0
		.amdhsa_user_sgpr_kernarg_preload_length 0
		.amdhsa_user_sgpr_kernarg_preload_offset 0
		.amdhsa_user_sgpr_private_segment_size 0
		.amdhsa_wavefront_size32 1
		.amdhsa_uses_dynamic_stack 0
		.amdhsa_enable_private_segment 0
		.amdhsa_system_sgpr_workgroup_id_x 1
		.amdhsa_system_sgpr_workgroup_id_y 0
		.amdhsa_system_sgpr_workgroup_id_z 0
		.amdhsa_system_sgpr_workgroup_info 0
		.amdhsa_system_vgpr_workitem_id 0
		.amdhsa_next_free_vgpr 10
		.amdhsa_next_free_sgpr 9
		.amdhsa_named_barrier_count 0
		.amdhsa_reserve_vcc 1
		.amdhsa_float_round_mode_32 0
		.amdhsa_float_round_mode_16_64 0
		.amdhsa_float_denorm_mode_32 3
		.amdhsa_float_denorm_mode_16_64 3
		.amdhsa_fp16_overflow 0
		.amdhsa_memory_ordered 1
		.amdhsa_forward_progress 1
		.amdhsa_inst_pref_size 3
		.amdhsa_round_robin_scheduling 0
		.amdhsa_exception_fp_ieee_invalid_op 0
		.amdhsa_exception_fp_denorm_src 0
		.amdhsa_exception_fp_ieee_div_zero 0
		.amdhsa_exception_fp_ieee_overflow 0
		.amdhsa_exception_fp_ieee_underflow 0
		.amdhsa_exception_fp_ieee_inexact 0
		.amdhsa_exception_int_div_zero 0
	.end_amdhsa_kernel
	.section	.text._ZN4RAJA6policy3hip4impl18forallp_hip_kernelINS1_8hip_execINS_17iteration_mapping6DirectENS_3hip11IndexGlobalILNS_9named_dimE0ELi256ELi0EEENS7_40AvoidDeviceMaxThreadOccupancyConcretizerINS7_34FractionOffsetOccupancyConcretizerINS_8FractionImLm1ELm1EEELln1EEEEELb1EEENS_9Iterators16numeric_iteratorIllPlEEZN8rajaperf5basic9PI_ATOMIC17runHipVariantImplILm256EEEvNSM_9VariantIDEEUllE0_lNS_4expt15ForallParamPackIJEEES6_SA_TnNSt9enable_ifIXaasr3std10is_base_ofINS5_10DirectBaseET4_EE5valuegtsrT5_10block_sizeLi0EEmE4typeELm256EEEvT1_T0_T2_T3_,"axG",@progbits,_ZN4RAJA6policy3hip4impl18forallp_hip_kernelINS1_8hip_execINS_17iteration_mapping6DirectENS_3hip11IndexGlobalILNS_9named_dimE0ELi256ELi0EEENS7_40AvoidDeviceMaxThreadOccupancyConcretizerINS7_34FractionOffsetOccupancyConcretizerINS_8FractionImLm1ELm1EEELln1EEEEELb1EEENS_9Iterators16numeric_iteratorIllPlEEZN8rajaperf5basic9PI_ATOMIC17runHipVariantImplILm256EEEvNSM_9VariantIDEEUllE0_lNS_4expt15ForallParamPackIJEEES6_SA_TnNSt9enable_ifIXaasr3std10is_base_ofINS5_10DirectBaseET4_EE5valuegtsrT5_10block_sizeLi0EEmE4typeELm256EEEvT1_T0_T2_T3_,comdat
.Lfunc_end2:
	.size	_ZN4RAJA6policy3hip4impl18forallp_hip_kernelINS1_8hip_execINS_17iteration_mapping6DirectENS_3hip11IndexGlobalILNS_9named_dimE0ELi256ELi0EEENS7_40AvoidDeviceMaxThreadOccupancyConcretizerINS7_34FractionOffsetOccupancyConcretizerINS_8FractionImLm1ELm1EEELln1EEEEELb1EEENS_9Iterators16numeric_iteratorIllPlEEZN8rajaperf5basic9PI_ATOMIC17runHipVariantImplILm256EEEvNSM_9VariantIDEEUllE0_lNS_4expt15ForallParamPackIJEEES6_SA_TnNSt9enable_ifIXaasr3std10is_base_ofINS5_10DirectBaseET4_EE5valuegtsrT5_10block_sizeLi0EEmE4typeELm256EEEvT1_T0_T2_T3_, .Lfunc_end2-_ZN4RAJA6policy3hip4impl18forallp_hip_kernelINS1_8hip_execINS_17iteration_mapping6DirectENS_3hip11IndexGlobalILNS_9named_dimE0ELi256ELi0EEENS7_40AvoidDeviceMaxThreadOccupancyConcretizerINS7_34FractionOffsetOccupancyConcretizerINS_8FractionImLm1ELm1EEELln1EEEEELb1EEENS_9Iterators16numeric_iteratorIllPlEEZN8rajaperf5basic9PI_ATOMIC17runHipVariantImplILm256EEEvNSM_9VariantIDEEUllE0_lNS_4expt15ForallParamPackIJEEES6_SA_TnNSt9enable_ifIXaasr3std10is_base_ofINS5_10DirectBaseET4_EE5valuegtsrT5_10block_sizeLi0EEmE4typeELm256EEEvT1_T0_T2_T3_
                                        ; -- End function
	.set _ZN4RAJA6policy3hip4impl18forallp_hip_kernelINS1_8hip_execINS_17iteration_mapping6DirectENS_3hip11IndexGlobalILNS_9named_dimE0ELi256ELi0EEENS7_40AvoidDeviceMaxThreadOccupancyConcretizerINS7_34FractionOffsetOccupancyConcretizerINS_8FractionImLm1ELm1EEELln1EEEEELb1EEENS_9Iterators16numeric_iteratorIllPlEEZN8rajaperf5basic9PI_ATOMIC17runHipVariantImplILm256EEEvNSM_9VariantIDEEUllE0_lNS_4expt15ForallParamPackIJEEES6_SA_TnNSt9enable_ifIXaasr3std10is_base_ofINS5_10DirectBaseET4_EE5valuegtsrT5_10block_sizeLi0EEmE4typeELm256EEEvT1_T0_T2_T3_.num_vgpr, 10
	.set _ZN4RAJA6policy3hip4impl18forallp_hip_kernelINS1_8hip_execINS_17iteration_mapping6DirectENS_3hip11IndexGlobalILNS_9named_dimE0ELi256ELi0EEENS7_40AvoidDeviceMaxThreadOccupancyConcretizerINS7_34FractionOffsetOccupancyConcretizerINS_8FractionImLm1ELm1EEELln1EEEEELb1EEENS_9Iterators16numeric_iteratorIllPlEEZN8rajaperf5basic9PI_ATOMIC17runHipVariantImplILm256EEEvNSM_9VariantIDEEUllE0_lNS_4expt15ForallParamPackIJEEES6_SA_TnNSt9enable_ifIXaasr3std10is_base_ofINS5_10DirectBaseET4_EE5valuegtsrT5_10block_sizeLi0EEmE4typeELm256EEEvT1_T0_T2_T3_.num_agpr, 0
	.set _ZN4RAJA6policy3hip4impl18forallp_hip_kernelINS1_8hip_execINS_17iteration_mapping6DirectENS_3hip11IndexGlobalILNS_9named_dimE0ELi256ELi0EEENS7_40AvoidDeviceMaxThreadOccupancyConcretizerINS7_34FractionOffsetOccupancyConcretizerINS_8FractionImLm1ELm1EEELln1EEEEELb1EEENS_9Iterators16numeric_iteratorIllPlEEZN8rajaperf5basic9PI_ATOMIC17runHipVariantImplILm256EEEvNSM_9VariantIDEEUllE0_lNS_4expt15ForallParamPackIJEEES6_SA_TnNSt9enable_ifIXaasr3std10is_base_ofINS5_10DirectBaseET4_EE5valuegtsrT5_10block_sizeLi0EEmE4typeELm256EEEvT1_T0_T2_T3_.numbered_sgpr, 9
	.set _ZN4RAJA6policy3hip4impl18forallp_hip_kernelINS1_8hip_execINS_17iteration_mapping6DirectENS_3hip11IndexGlobalILNS_9named_dimE0ELi256ELi0EEENS7_40AvoidDeviceMaxThreadOccupancyConcretizerINS7_34FractionOffsetOccupancyConcretizerINS_8FractionImLm1ELm1EEELln1EEEEELb1EEENS_9Iterators16numeric_iteratorIllPlEEZN8rajaperf5basic9PI_ATOMIC17runHipVariantImplILm256EEEvNSM_9VariantIDEEUllE0_lNS_4expt15ForallParamPackIJEEES6_SA_TnNSt9enable_ifIXaasr3std10is_base_ofINS5_10DirectBaseET4_EE5valuegtsrT5_10block_sizeLi0EEmE4typeELm256EEEvT1_T0_T2_T3_.num_named_barrier, 0
	.set _ZN4RAJA6policy3hip4impl18forallp_hip_kernelINS1_8hip_execINS_17iteration_mapping6DirectENS_3hip11IndexGlobalILNS_9named_dimE0ELi256ELi0EEENS7_40AvoidDeviceMaxThreadOccupancyConcretizerINS7_34FractionOffsetOccupancyConcretizerINS_8FractionImLm1ELm1EEELln1EEEEELb1EEENS_9Iterators16numeric_iteratorIllPlEEZN8rajaperf5basic9PI_ATOMIC17runHipVariantImplILm256EEEvNSM_9VariantIDEEUllE0_lNS_4expt15ForallParamPackIJEEES6_SA_TnNSt9enable_ifIXaasr3std10is_base_ofINS5_10DirectBaseET4_EE5valuegtsrT5_10block_sizeLi0EEmE4typeELm256EEEvT1_T0_T2_T3_.private_seg_size, 0
	.set _ZN4RAJA6policy3hip4impl18forallp_hip_kernelINS1_8hip_execINS_17iteration_mapping6DirectENS_3hip11IndexGlobalILNS_9named_dimE0ELi256ELi0EEENS7_40AvoidDeviceMaxThreadOccupancyConcretizerINS7_34FractionOffsetOccupancyConcretizerINS_8FractionImLm1ELm1EEELln1EEEEELb1EEENS_9Iterators16numeric_iteratorIllPlEEZN8rajaperf5basic9PI_ATOMIC17runHipVariantImplILm256EEEvNSM_9VariantIDEEUllE0_lNS_4expt15ForallParamPackIJEEES6_SA_TnNSt9enable_ifIXaasr3std10is_base_ofINS5_10DirectBaseET4_EE5valuegtsrT5_10block_sizeLi0EEmE4typeELm256EEEvT1_T0_T2_T3_.uses_vcc, 1
	.set _ZN4RAJA6policy3hip4impl18forallp_hip_kernelINS1_8hip_execINS_17iteration_mapping6DirectENS_3hip11IndexGlobalILNS_9named_dimE0ELi256ELi0EEENS7_40AvoidDeviceMaxThreadOccupancyConcretizerINS7_34FractionOffsetOccupancyConcretizerINS_8FractionImLm1ELm1EEELln1EEEEELb1EEENS_9Iterators16numeric_iteratorIllPlEEZN8rajaperf5basic9PI_ATOMIC17runHipVariantImplILm256EEEvNSM_9VariantIDEEUllE0_lNS_4expt15ForallParamPackIJEEES6_SA_TnNSt9enable_ifIXaasr3std10is_base_ofINS5_10DirectBaseET4_EE5valuegtsrT5_10block_sizeLi0EEmE4typeELm256EEEvT1_T0_T2_T3_.uses_flat_scratch, 0
	.set _ZN4RAJA6policy3hip4impl18forallp_hip_kernelINS1_8hip_execINS_17iteration_mapping6DirectENS_3hip11IndexGlobalILNS_9named_dimE0ELi256ELi0EEENS7_40AvoidDeviceMaxThreadOccupancyConcretizerINS7_34FractionOffsetOccupancyConcretizerINS_8FractionImLm1ELm1EEELln1EEEEELb1EEENS_9Iterators16numeric_iteratorIllPlEEZN8rajaperf5basic9PI_ATOMIC17runHipVariantImplILm256EEEvNSM_9VariantIDEEUllE0_lNS_4expt15ForallParamPackIJEEES6_SA_TnNSt9enable_ifIXaasr3std10is_base_ofINS5_10DirectBaseET4_EE5valuegtsrT5_10block_sizeLi0EEmE4typeELm256EEEvT1_T0_T2_T3_.has_dyn_sized_stack, 0
	.set _ZN4RAJA6policy3hip4impl18forallp_hip_kernelINS1_8hip_execINS_17iteration_mapping6DirectENS_3hip11IndexGlobalILNS_9named_dimE0ELi256ELi0EEENS7_40AvoidDeviceMaxThreadOccupancyConcretizerINS7_34FractionOffsetOccupancyConcretizerINS_8FractionImLm1ELm1EEELln1EEEEELb1EEENS_9Iterators16numeric_iteratorIllPlEEZN8rajaperf5basic9PI_ATOMIC17runHipVariantImplILm256EEEvNSM_9VariantIDEEUllE0_lNS_4expt15ForallParamPackIJEEES6_SA_TnNSt9enable_ifIXaasr3std10is_base_ofINS5_10DirectBaseET4_EE5valuegtsrT5_10block_sizeLi0EEmE4typeELm256EEEvT1_T0_T2_T3_.has_recursion, 0
	.set _ZN4RAJA6policy3hip4impl18forallp_hip_kernelINS1_8hip_execINS_17iteration_mapping6DirectENS_3hip11IndexGlobalILNS_9named_dimE0ELi256ELi0EEENS7_40AvoidDeviceMaxThreadOccupancyConcretizerINS7_34FractionOffsetOccupancyConcretizerINS_8FractionImLm1ELm1EEELln1EEEEELb1EEENS_9Iterators16numeric_iteratorIllPlEEZN8rajaperf5basic9PI_ATOMIC17runHipVariantImplILm256EEEvNSM_9VariantIDEEUllE0_lNS_4expt15ForallParamPackIJEEES6_SA_TnNSt9enable_ifIXaasr3std10is_base_ofINS5_10DirectBaseET4_EE5valuegtsrT5_10block_sizeLi0EEmE4typeELm256EEEvT1_T0_T2_T3_.has_indirect_call, 0
	.section	.AMDGPU.csdata,"",@progbits
; Kernel info:
; codeLenInByte = 372
; TotalNumSgprs: 11
; NumVgprs: 10
; ScratchSize: 0
; MemoryBound: 0
; FloatMode: 240
; IeeeMode: 1
; LDSByteSize: 0 bytes/workgroup (compile time only)
; SGPRBlocks: 0
; VGPRBlocks: 0
; NumSGPRsForWavesPerEU: 11
; NumVGPRsForWavesPerEU: 10
; NamedBarCnt: 0
; Occupancy: 16
; WaveLimiterHint : 0
; COMPUTE_PGM_RSRC2:SCRATCH_EN: 0
; COMPUTE_PGM_RSRC2:USER_SGPR: 2
; COMPUTE_PGM_RSRC2:TRAP_HANDLER: 0
; COMPUTE_PGM_RSRC2:TGID_X_EN: 1
; COMPUTE_PGM_RSRC2:TGID_Y_EN: 0
; COMPUTE_PGM_RSRC2:TGID_Z_EN: 0
; COMPUTE_PGM_RSRC2:TIDIG_COMP_CNT: 0
	.section	.AMDGPU.gpr_maximums,"",@progbits
	.set amdgpu.max_num_vgpr, 0
	.set amdgpu.max_num_agpr, 0
	.set amdgpu.max_num_sgpr, 0
	.section	.AMDGPU.csdata,"",@progbits
	.type	__hip_cuid_5f11eba74ffb99a9,@object ; @__hip_cuid_5f11eba74ffb99a9
	.section	.bss,"aw",@nobits
	.globl	__hip_cuid_5f11eba74ffb99a9
__hip_cuid_5f11eba74ffb99a9:
	.byte	0                               ; 0x0
	.size	__hip_cuid_5f11eba74ffb99a9, 1

	.ident	"AMD clang version 22.0.0git (https://github.com/RadeonOpenCompute/llvm-project roc-7.2.4 26084 f58b06dce1f9c15707c5f808fd002e18c2accf7e)"
	.section	".note.GNU-stack","",@progbits
	.addrsig
	.addrsig_sym __hip_cuid_5f11eba74ffb99a9
	.amdgpu_metadata
---
amdhsa.kernels:
  - .args:
      - .address_space:  global
        .offset:         0
        .size:           8
        .value_kind:     global_buffer
      - .offset:         8
        .size:           8
        .value_kind:     by_value
      - .offset:         16
        .size:           8
        .value_kind:     by_value
    .group_segment_fixed_size: 0
    .kernarg_segment_align: 8
    .kernarg_segment_size: 24
    .language:       OpenCL C
    .language_version:
      - 2
      - 0
    .max_flat_workgroup_size: 256
    .name:           _ZN8rajaperf5basic9pi_atomicILm256EEEvPddl
    .private_segment_fixed_size: 0
    .sgpr_count:     9
    .sgpr_spill_count: 0
    .symbol:         _ZN8rajaperf5basic9pi_atomicILm256EEEvPddl.kd
    .uniform_work_group_size: 1
    .uses_dynamic_stack: false
    .vgpr_count:     10
    .vgpr_spill_count: 0
    .wavefront_size: 32
  - .args:
      - .offset:         0
        .size:           8
        .value_kind:     by_value
      - .offset:         8
        .size:           8
        .value_kind:     by_value
      - .offset:         16
        .size:           16
        .value_kind:     by_value
    .group_segment_fixed_size: 0
    .kernarg_segment_align: 8
    .kernarg_segment_size: 32
    .language:       OpenCL C
    .language_version:
      - 2
      - 0
    .max_flat_workgroup_size: 256
    .name:           _ZN8rajaperf17lambda_hip_forallILm256EZNS_5basic9PI_ATOMIC17runHipVariantImplILm256EEEvNS_9VariantIDEEUllE_EEvllT0_
    .private_segment_fixed_size: 0
    .sgpr_count:     11
    .sgpr_spill_count: 0
    .symbol:         _ZN8rajaperf17lambda_hip_forallILm256EZNS_5basic9PI_ATOMIC17runHipVariantImplILm256EEEvNS_9VariantIDEEUllE_EEvllT0_.kd
    .uniform_work_group_size: 1
    .uses_dynamic_stack: false
    .vgpr_count:     10
    .vgpr_spill_count: 0
    .wavefront_size: 32
  - .args:
      - .offset:         0
        .size:           16
        .value_kind:     by_value
      - .offset:         16
        .size:           8
        .value_kind:     by_value
      - .offset:         24
        .size:           8
        .value_kind:     by_value
      - .offset:         32
        .size:           1
        .value_kind:     by_value
    .group_segment_fixed_size: 0
    .kernarg_segment_align: 8
    .kernarg_segment_size: 36
    .language:       OpenCL C
    .language_version:
      - 2
      - 0
    .max_flat_workgroup_size: 256
    .name:           _ZN4RAJA6policy3hip4impl18forallp_hip_kernelINS1_8hip_execINS_17iteration_mapping6DirectENS_3hip11IndexGlobalILNS_9named_dimE0ELi256ELi0EEENS7_40AvoidDeviceMaxThreadOccupancyConcretizerINS7_34FractionOffsetOccupancyConcretizerINS_8FractionImLm1ELm1EEELln1EEEEELb1EEENS_9Iterators16numeric_iteratorIllPlEEZN8rajaperf5basic9PI_ATOMIC17runHipVariantImplILm256EEEvNSM_9VariantIDEEUllE0_lNS_4expt15ForallParamPackIJEEES6_SA_TnNSt9enable_ifIXaasr3std10is_base_ofINS5_10DirectBaseET4_EE5valuegtsrT5_10block_sizeLi0EEmE4typeELm256EEEvT1_T0_T2_T3_
    .private_segment_fixed_size: 0
    .sgpr_count:     11
    .sgpr_spill_count: 0
    .symbol:         _ZN4RAJA6policy3hip4impl18forallp_hip_kernelINS1_8hip_execINS_17iteration_mapping6DirectENS_3hip11IndexGlobalILNS_9named_dimE0ELi256ELi0EEENS7_40AvoidDeviceMaxThreadOccupancyConcretizerINS7_34FractionOffsetOccupancyConcretizerINS_8FractionImLm1ELm1EEELln1EEEEELb1EEENS_9Iterators16numeric_iteratorIllPlEEZN8rajaperf5basic9PI_ATOMIC17runHipVariantImplILm256EEEvNSM_9VariantIDEEUllE0_lNS_4expt15ForallParamPackIJEEES6_SA_TnNSt9enable_ifIXaasr3std10is_base_ofINS5_10DirectBaseET4_EE5valuegtsrT5_10block_sizeLi0EEmE4typeELm256EEEvT1_T0_T2_T3_.kd
    .uniform_work_group_size: 1
    .uses_dynamic_stack: false
    .vgpr_count:     10
    .vgpr_spill_count: 0
    .wavefront_size: 32
amdhsa.target:   amdgcn-amd-amdhsa--gfx1250
amdhsa.version:
  - 1
  - 2
...

	.end_amdgpu_metadata
